;; amdgpu-corpus repo=zjin-lcf/HeCBench kind=compiled arch=gfx950 opt=O3
	.amdgcn_target "amdgcn-amd-amdhsa--gfx950"
	.amdhsa_code_object_version 6
	.section	.text._Z11dense_esuhmIfEvPKT_S2_PS0_iPKi,"axG",@progbits,_Z11dense_esuhmIfEvPKT_S2_PS0_iPKi,comdat
	.protected	_Z11dense_esuhmIfEvPKT_S2_PS0_iPKi ; -- Begin function _Z11dense_esuhmIfEvPKT_S2_PS0_iPKi
	.globl	_Z11dense_esuhmIfEvPKT_S2_PS0_iPKi
	.p2align	8
	.type	_Z11dense_esuhmIfEvPKT_S2_PS0_iPKi,@function
_Z11dense_esuhmIfEvPKT_S2_PS0_iPKi:     ; @_Z11dense_esuhmIfEvPKT_S2_PS0_iPKi
; %bb.0:
	s_load_dword s8, s[0:1], 0x18
	s_waitcnt lgkmcnt(0)
	v_cmp_gt_i32_e32 vcc, s8, v0
	s_and_saveexec_b64 s[4:5], vcc
	s_cbranch_execz .LBB0_11
; %bb.1:
	s_load_dword s9, s[0:1], 0x34
	s_load_dwordx2 s[4:5], s[0:1], 0x20
	s_ashr_i32 s3, s2, 31
	s_lshl_b64 s[6:7], s[2:3], 2
	v_add_u32_e32 v1, 1, v0
	s_waitcnt lgkmcnt(0)
	s_and_b32 s22, s9, 0xffff
	s_add_u32 s14, s4, s6
	s_addc_u32 s15, s5, s7
	s_load_dwordx2 s[10:11], s[14:15], 0x0
	s_load_dwordx4 s[4:7], s[0:1], 0x0
	s_load_dwordx2 s[12:13], s[0:1], 0x10
	s_mul_i32 s23, s8, s2
	s_mov_b32 s25, 0
	s_waitcnt lgkmcnt(0)
	s_sub_i32 s24, s11, s10
	s_cmp_eq_u32 s8, 1
	s_cselect_b64 s[0:1], -1, 0
	s_ashr_i32 s9, s8, 31
	v_add_u32_e32 v8, s10, v0
	v_sub_u32_e32 v9, 0, v0
	s_ashr_i32 s11, s10, 31
	s_lshl_b64 s[2:3], s[8:9], 2
	s_mov_b64 s[14:15], 0
	v_mov_b32_e32 v10, v1
	v_mov_b32_e32 v11, v0
	s_branch .LBB0_3
.LBB0_2:                                ;   in Loop: Header=BB0_3 Depth=1
	s_or_b64 exec, exec, s[16:17]
	v_add_u32_e32 v11, s22, v11
	s_add_i32 s25, s25, 1
	v_cmp_le_i32_e32 vcc, s8, v11
	v_add_u32_e32 v8, s22, v8
	v_add_u32_e32 v10, s22, v10
	s_or_b64 s[14:15], vcc, s[14:15]
	v_subrev_u32_e32 v9, s22, v9
	s_andn2_b64 exec, exec, s[14:15]
	s_cbranch_execz .LBB0_11
.LBB0_3:                                ; =>This Loop Header: Depth=1
                                        ;     Child Loop BB0_6 Depth 2
                                        ;     Child Loop BB0_10 Depth 2
	v_cmp_gt_i32_e32 vcc, s24, v11
	s_and_saveexec_b64 s[16:17], vcc
	s_cbranch_execz .LBB0_2
; %bb.4:                                ;   in Loop: Header=BB0_3 Depth=1
	s_waitcnt vmcnt(0)
	v_add_u32_e32 v2, s23, v11
	v_ashrrev_i32_e32 v3, 31, v2
	v_lshl_add_u64 v[2:3], v[2:3], 2, s[6:7]
	global_load_dword v2, v[2:3], off
	s_mul_i32 s9, s25, s22
	v_add_u32_e32 v3, s9, v1
	v_max_i32_e32 v3, s24, v3
	v_add_u32_e32 v4, s9, v0
	v_sub_u32_e32 v6, v3, v4
	v_cmp_lt_u32_e32 vcc, 1, v6
	s_and_b64 s[26:27], vcc, s[0:1]
	s_mov_b64 s[20:21], -1
	v_mov_b32_e32 v4, v11
	s_and_saveexec_b64 s[18:19], s[26:27]
	s_cbranch_execz .LBB0_8
; %bb.5:                                ;   in Loop: Header=BB0_3 Depth=1
	v_max_i32_e32 v3, s24, v10
	v_add_u32_e32 v3, v3, v9
	v_and_b32_e32 v7, -2, v3
	s_waitcnt vmcnt(0)
	v_mov_b32_e32 v3, v2
	s_mov_b64 s[20:21], 0
	v_mov_b32_e32 v4, v8
.LBB0_6:                                ;   Parent Loop BB0_3 Depth=1
                                        ; =>  This Inner Loop Header: Depth=2
	v_ashrrev_i32_e32 v5, 31, v4
	v_lshlrev_b64 v[12:13], 2, v[4:5]
	v_lshl_add_u64 v[14:15], s[4:5], 0, v[12:13]
	global_load_dwordx2 v[14:15], v[14:15], off
	v_add_u32_e32 v7, -2, v7
	v_cmp_eq_u32_e32 vcc, 0, v7
	v_lshl_add_u64 v[12:13], s[12:13], 0, v[12:13]
	s_or_b64 s[20:21], vcc, s[20:21]
	v_add_u32_e32 v4, 2, v4
	s_waitcnt vmcnt(0)
	v_pk_add_f32 v[14:15], v[2:3], v[14:15]
	global_store_dwordx2 v[12:13], v[14:15], off
	s_andn2_b64 exec, exec, s[20:21]
	s_cbranch_execnz .LBB0_6
; %bb.7:                                ;   in Loop: Header=BB0_3 Depth=1
	s_or_b64 exec, exec, s[20:21]
	v_and_b32_e32 v3, -2, v6
	v_cmp_ne_u32_e32 vcc, v6, v3
	v_add_u32_e32 v4, v11, v3
	s_orn2_b64 s[20:21], vcc, exec
.LBB0_8:                                ;   in Loop: Header=BB0_3 Depth=1
	s_or_b64 exec, exec, s[18:19]
	s_and_b64 exec, exec, s[20:21]
	s_cbranch_execz .LBB0_2
; %bb.9:                                ;   in Loop: Header=BB0_3 Depth=1
	v_ashrrev_i32_e32 v5, 31, v4
	v_lshl_add_u64 v[6:7], s[10:11], 0, v[4:5]
	v_lshlrev_b64 v[6:7], 2, v[6:7]
	s_mov_b64 s[18:19], 0
.LBB0_10:                               ;   Parent Loop BB0_3 Depth=1
                                        ; =>  This Inner Loop Header: Depth=2
	v_lshl_add_u64 v[12:13], s[4:5], 0, v[6:7]
	global_load_dword v3, v[12:13], off
	v_add_u32_e32 v4, s8, v4
	v_cmp_le_i32_e32 vcc, s24, v4
	v_lshl_add_u64 v[12:13], s[12:13], 0, v[6:7]
	v_lshl_add_u64 v[6:7], v[6:7], 0, s[2:3]
	s_or_b64 s[18:19], vcc, s[18:19]
	s_waitcnt vmcnt(0)
	v_add_f32_e32 v3, v2, v3
	global_store_dword v[12:13], v3, off
	s_andn2_b64 exec, exec, s[18:19]
	s_cbranch_execnz .LBB0_10
	s_branch .LBB0_2
.LBB0_11:
	s_endpgm
	.section	.rodata,"a",@progbits
	.p2align	6, 0x0
	.amdhsa_kernel _Z11dense_esuhmIfEvPKT_S2_PS0_iPKi
		.amdhsa_group_segment_fixed_size 0
		.amdhsa_private_segment_fixed_size 0
		.amdhsa_kernarg_size 296
		.amdhsa_user_sgpr_count 2
		.amdhsa_user_sgpr_dispatch_ptr 0
		.amdhsa_user_sgpr_queue_ptr 0
		.amdhsa_user_sgpr_kernarg_segment_ptr 1
		.amdhsa_user_sgpr_dispatch_id 0
		.amdhsa_user_sgpr_kernarg_preload_length 0
		.amdhsa_user_sgpr_kernarg_preload_offset 0
		.amdhsa_user_sgpr_private_segment_size 0
		.amdhsa_uses_dynamic_stack 0
		.amdhsa_enable_private_segment 0
		.amdhsa_system_sgpr_workgroup_id_x 1
		.amdhsa_system_sgpr_workgroup_id_y 0
		.amdhsa_system_sgpr_workgroup_id_z 0
		.amdhsa_system_sgpr_workgroup_info 0
		.amdhsa_system_vgpr_workitem_id 0
		.amdhsa_next_free_vgpr 16
		.amdhsa_next_free_sgpr 28
		.amdhsa_accum_offset 16
		.amdhsa_reserve_vcc 1
		.amdhsa_float_round_mode_32 0
		.amdhsa_float_round_mode_16_64 0
		.amdhsa_float_denorm_mode_32 3
		.amdhsa_float_denorm_mode_16_64 3
		.amdhsa_dx10_clamp 1
		.amdhsa_ieee_mode 1
		.amdhsa_fp16_overflow 0
		.amdhsa_tg_split 0
		.amdhsa_exception_fp_ieee_invalid_op 0
		.amdhsa_exception_fp_denorm_src 0
		.amdhsa_exception_fp_ieee_div_zero 0
		.amdhsa_exception_fp_ieee_overflow 0
		.amdhsa_exception_fp_ieee_underflow 0
		.amdhsa_exception_fp_ieee_inexact 0
		.amdhsa_exception_int_div_zero 0
	.end_amdhsa_kernel
	.section	.text._Z11dense_esuhmIfEvPKT_S2_PS0_iPKi,"axG",@progbits,_Z11dense_esuhmIfEvPKT_S2_PS0_iPKi,comdat
.Lfunc_end0:
	.size	_Z11dense_esuhmIfEvPKT_S2_PS0_iPKi, .Lfunc_end0-_Z11dense_esuhmIfEvPKT_S2_PS0_iPKi
                                        ; -- End function
	.set _Z11dense_esuhmIfEvPKT_S2_PS0_iPKi.num_vgpr, 16
	.set _Z11dense_esuhmIfEvPKT_S2_PS0_iPKi.num_agpr, 0
	.set _Z11dense_esuhmIfEvPKT_S2_PS0_iPKi.numbered_sgpr, 28
	.set _Z11dense_esuhmIfEvPKT_S2_PS0_iPKi.num_named_barrier, 0
	.set _Z11dense_esuhmIfEvPKT_S2_PS0_iPKi.private_seg_size, 0
	.set _Z11dense_esuhmIfEvPKT_S2_PS0_iPKi.uses_vcc, 1
	.set _Z11dense_esuhmIfEvPKT_S2_PS0_iPKi.uses_flat_scratch, 0
	.set _Z11dense_esuhmIfEvPKT_S2_PS0_iPKi.has_dyn_sized_stack, 0
	.set _Z11dense_esuhmIfEvPKT_S2_PS0_iPKi.has_recursion, 0
	.set _Z11dense_esuhmIfEvPKT_S2_PS0_iPKi.has_indirect_call, 0
	.section	.AMDGPU.csdata,"",@progbits
; Kernel info:
; codeLenInByte = 520
; TotalNumSgprs: 34
; NumVgprs: 16
; NumAgprs: 0
; TotalNumVgprs: 16
; ScratchSize: 0
; MemoryBound: 0
; FloatMode: 240
; IeeeMode: 1
; LDSByteSize: 0 bytes/workgroup (compile time only)
; SGPRBlocks: 4
; VGPRBlocks: 1
; NumSGPRsForWavesPerEU: 34
; NumVGPRsForWavesPerEU: 16
; AccumOffset: 16
; Occupancy: 8
; WaveLimiterHint : 0
; COMPUTE_PGM_RSRC2:SCRATCH_EN: 0
; COMPUTE_PGM_RSRC2:USER_SGPR: 2
; COMPUTE_PGM_RSRC2:TRAP_HANDLER: 0
; COMPUTE_PGM_RSRC2:TGID_X_EN: 1
; COMPUTE_PGM_RSRC2:TGID_Y_EN: 0
; COMPUTE_PGM_RSRC2:TGID_Z_EN: 0
; COMPUTE_PGM_RSRC2:TIDIG_COMP_CNT: 0
; COMPUTE_PGM_RSRC3_GFX90A:ACCUM_OFFSET: 3
; COMPUTE_PGM_RSRC3_GFX90A:TG_SPLIT: 0
	.section	.text._Z12dense_esuhm2IfEvPKT_S2_PS0_iPKi,"axG",@progbits,_Z12dense_esuhm2IfEvPKT_S2_PS0_iPKi,comdat
	.protected	_Z12dense_esuhm2IfEvPKT_S2_PS0_iPKi ; -- Begin function _Z12dense_esuhm2IfEvPKT_S2_PS0_iPKi
	.globl	_Z12dense_esuhm2IfEvPKT_S2_PS0_iPKi
	.p2align	8
	.type	_Z12dense_esuhm2IfEvPKT_S2_PS0_iPKi,@function
_Z12dense_esuhm2IfEvPKT_S2_PS0_iPKi:    ; @_Z12dense_esuhm2IfEvPKT_S2_PS0_iPKi
; %bb.0:
	s_load_dword s8, s[0:1], 0x18
	s_waitcnt lgkmcnt(0)
	v_cmp_gt_i32_e32 vcc, s8, v0
	s_and_saveexec_b64 s[4:5], vcc
	s_cbranch_execz .LBB1_11
; %bb.1:
	s_load_dwordx2 s[4:5], s[0:1], 0x20
	s_load_dword s9, s[0:1], 0x34
	s_ashr_i32 s3, s2, 31
	s_lshl_b64 s[6:7], s[2:3], 2
	v_add_u32_e32 v1, 1, v0
	s_waitcnt lgkmcnt(0)
	s_add_u32 s14, s4, s6
	s_addc_u32 s15, s5, s7
	s_load_dwordx2 s[10:11], s[14:15], 0x0
	s_load_dwordx4 s[4:7], s[0:1], 0x0
	s_load_dwordx2 s[12:13], s[0:1], 0x10
	s_and_b32 s23, s9, 0xffff
	s_mul_i32 s22, s8, s2
	s_waitcnt lgkmcnt(0)
	s_sub_i32 s24, s11, s10
	s_cmp_eq_u32 s8, 1
	s_cselect_b64 s[0:1], -1, 0
	s_ashr_i32 s9, s8, 31
	v_add_u32_e32 v8, s10, v0
	s_mov_b32 s25, 0
	v_sub_u32_e32 v9, 0, v0
	s_ashr_i32 s11, s10, 31
	s_lshl_b64 s[2:3], s[8:9], 2
	s_mov_b64 s[14:15], 0
	v_mov_b32_e32 v10, v1
	v_mov_b32_e32 v11, v0
	s_branch .LBB1_3
.LBB1_2:                                ;   in Loop: Header=BB1_3 Depth=1
	s_or_b64 exec, exec, s[16:17]
	v_add_u32_e32 v11, s23, v11
	s_add_i32 s25, s25, 1
	v_cmp_le_i32_e32 vcc, s8, v11
	v_add_u32_e32 v8, s23, v8
	v_add_u32_e32 v10, s23, v10
	s_or_b64 s[14:15], vcc, s[14:15]
	v_subrev_u32_e32 v9, s23, v9
	s_andn2_b64 exec, exec, s[14:15]
	s_cbranch_execz .LBB1_11
.LBB1_3:                                ; =>This Loop Header: Depth=1
                                        ;     Child Loop BB1_6 Depth 2
                                        ;     Child Loop BB1_10 Depth 2
	v_cmp_gt_i32_e32 vcc, s24, v11
	s_and_saveexec_b64 s[16:17], vcc
	s_cbranch_execz .LBB1_2
; %bb.4:                                ;   in Loop: Header=BB1_3 Depth=1
	s_waitcnt vmcnt(0)
	v_add_u32_e32 v2, s22, v11
	v_ashrrev_i32_e32 v3, 31, v2
	v_lshl_add_u64 v[2:3], v[2:3], 2, s[6:7]
	global_load_dword v2, v[2:3], off
	s_mul_i32 s9, s25, s23
	v_add_u32_e32 v3, s9, v1
	v_max_i32_e32 v3, s24, v3
	v_add_u32_e32 v4, s9, v0
	v_sub_u32_e32 v6, v3, v4
	v_cmp_lt_u32_e32 vcc, 1, v6
	s_and_b64 s[26:27], vcc, s[0:1]
	s_mov_b64 s[20:21], -1
	v_mov_b32_e32 v4, v11
	s_and_saveexec_b64 s[18:19], s[26:27]
	s_cbranch_execz .LBB1_8
; %bb.5:                                ;   in Loop: Header=BB1_3 Depth=1
	v_max_i32_e32 v3, s24, v10
	v_add_u32_e32 v3, v3, v9
	v_and_b32_e32 v7, -2, v3
	s_waitcnt vmcnt(0)
	v_mov_b32_e32 v3, v2
	s_mov_b64 s[20:21], 0
	v_mov_b32_e32 v4, v8
.LBB1_6:                                ;   Parent Loop BB1_3 Depth=1
                                        ; =>  This Inner Loop Header: Depth=2
	v_ashrrev_i32_e32 v5, 31, v4
	v_lshlrev_b64 v[12:13], 2, v[4:5]
	v_lshl_add_u64 v[14:15], s[4:5], 0, v[12:13]
	global_load_dwordx2 v[14:15], v[14:15], off
	v_add_u32_e32 v7, -2, v7
	v_cmp_eq_u32_e32 vcc, 0, v7
	v_lshl_add_u64 v[12:13], s[12:13], 0, v[12:13]
	s_or_b64 s[20:21], vcc, s[20:21]
	v_add_u32_e32 v4, 2, v4
	s_waitcnt vmcnt(0)
	v_pk_add_f32 v[14:15], v[2:3], v[14:15]
	global_store_dwordx2 v[12:13], v[14:15], off
	s_andn2_b64 exec, exec, s[20:21]
	s_cbranch_execnz .LBB1_6
; %bb.7:                                ;   in Loop: Header=BB1_3 Depth=1
	s_or_b64 exec, exec, s[20:21]
	v_and_b32_e32 v3, -2, v6
	v_cmp_ne_u32_e32 vcc, v6, v3
	v_add_u32_e32 v4, v11, v3
	s_orn2_b64 s[20:21], vcc, exec
.LBB1_8:                                ;   in Loop: Header=BB1_3 Depth=1
	s_or_b64 exec, exec, s[18:19]
	s_and_b64 exec, exec, s[20:21]
	s_cbranch_execz .LBB1_2
; %bb.9:                                ;   in Loop: Header=BB1_3 Depth=1
	v_ashrrev_i32_e32 v5, 31, v4
	v_lshl_add_u64 v[6:7], s[10:11], 0, v[4:5]
	v_lshlrev_b64 v[6:7], 2, v[6:7]
	s_mov_b64 s[18:19], 0
.LBB1_10:                               ;   Parent Loop BB1_3 Depth=1
                                        ; =>  This Inner Loop Header: Depth=2
	v_lshl_add_u64 v[12:13], s[4:5], 0, v[6:7]
	global_load_dword v3, v[12:13], off
	v_add_u32_e32 v4, s8, v4
	v_cmp_le_i32_e32 vcc, s24, v4
	v_lshl_add_u64 v[12:13], s[12:13], 0, v[6:7]
	v_lshl_add_u64 v[6:7], v[6:7], 0, s[2:3]
	s_or_b64 s[18:19], vcc, s[18:19]
	s_waitcnt vmcnt(0)
	v_add_f32_e32 v3, v2, v3
	global_store_dword v[12:13], v3, off
	s_andn2_b64 exec, exec, s[18:19]
	s_cbranch_execnz .LBB1_10
	s_branch .LBB1_2
.LBB1_11:
	s_endpgm
	.section	.rodata,"a",@progbits
	.p2align	6, 0x0
	.amdhsa_kernel _Z12dense_esuhm2IfEvPKT_S2_PS0_iPKi
		.amdhsa_group_segment_fixed_size 0
		.amdhsa_private_segment_fixed_size 0
		.amdhsa_kernarg_size 296
		.amdhsa_user_sgpr_count 2
		.amdhsa_user_sgpr_dispatch_ptr 0
		.amdhsa_user_sgpr_queue_ptr 0
		.amdhsa_user_sgpr_kernarg_segment_ptr 1
		.amdhsa_user_sgpr_dispatch_id 0
		.amdhsa_user_sgpr_kernarg_preload_length 0
		.amdhsa_user_sgpr_kernarg_preload_offset 0
		.amdhsa_user_sgpr_private_segment_size 0
		.amdhsa_uses_dynamic_stack 0
		.amdhsa_enable_private_segment 0
		.amdhsa_system_sgpr_workgroup_id_x 1
		.amdhsa_system_sgpr_workgroup_id_y 0
		.amdhsa_system_sgpr_workgroup_id_z 0
		.amdhsa_system_sgpr_workgroup_info 0
		.amdhsa_system_vgpr_workitem_id 0
		.amdhsa_next_free_vgpr 16
		.amdhsa_next_free_sgpr 28
		.amdhsa_accum_offset 16
		.amdhsa_reserve_vcc 1
		.amdhsa_float_round_mode_32 0
		.amdhsa_float_round_mode_16_64 0
		.amdhsa_float_denorm_mode_32 3
		.amdhsa_float_denorm_mode_16_64 3
		.amdhsa_dx10_clamp 1
		.amdhsa_ieee_mode 1
		.amdhsa_fp16_overflow 0
		.amdhsa_tg_split 0
		.amdhsa_exception_fp_ieee_invalid_op 0
		.amdhsa_exception_fp_denorm_src 0
		.amdhsa_exception_fp_ieee_div_zero 0
		.amdhsa_exception_fp_ieee_overflow 0
		.amdhsa_exception_fp_ieee_underflow 0
		.amdhsa_exception_fp_ieee_inexact 0
		.amdhsa_exception_int_div_zero 0
	.end_amdhsa_kernel
	.section	.text._Z12dense_esuhm2IfEvPKT_S2_PS0_iPKi,"axG",@progbits,_Z12dense_esuhm2IfEvPKT_S2_PS0_iPKi,comdat
.Lfunc_end1:
	.size	_Z12dense_esuhm2IfEvPKT_S2_PS0_iPKi, .Lfunc_end1-_Z12dense_esuhm2IfEvPKT_S2_PS0_iPKi
                                        ; -- End function
	.set _Z12dense_esuhm2IfEvPKT_S2_PS0_iPKi.num_vgpr, 16
	.set _Z12dense_esuhm2IfEvPKT_S2_PS0_iPKi.num_agpr, 0
	.set _Z12dense_esuhm2IfEvPKT_S2_PS0_iPKi.numbered_sgpr, 28
	.set _Z12dense_esuhm2IfEvPKT_S2_PS0_iPKi.num_named_barrier, 0
	.set _Z12dense_esuhm2IfEvPKT_S2_PS0_iPKi.private_seg_size, 0
	.set _Z12dense_esuhm2IfEvPKT_S2_PS0_iPKi.uses_vcc, 1
	.set _Z12dense_esuhm2IfEvPKT_S2_PS0_iPKi.uses_flat_scratch, 0
	.set _Z12dense_esuhm2IfEvPKT_S2_PS0_iPKi.has_dyn_sized_stack, 0
	.set _Z12dense_esuhm2IfEvPKT_S2_PS0_iPKi.has_recursion, 0
	.set _Z12dense_esuhm2IfEvPKT_S2_PS0_iPKi.has_indirect_call, 0
	.section	.AMDGPU.csdata,"",@progbits
; Kernel info:
; codeLenInByte = 520
; TotalNumSgprs: 34
; NumVgprs: 16
; NumAgprs: 0
; TotalNumVgprs: 16
; ScratchSize: 0
; MemoryBound: 0
; FloatMode: 240
; IeeeMode: 1
; LDSByteSize: 0 bytes/workgroup (compile time only)
; SGPRBlocks: 4
; VGPRBlocks: 1
; NumSGPRsForWavesPerEU: 34
; NumVGPRsForWavesPerEU: 16
; AccumOffset: 16
; Occupancy: 8
; WaveLimiterHint : 0
; COMPUTE_PGM_RSRC2:SCRATCH_EN: 0
; COMPUTE_PGM_RSRC2:USER_SGPR: 2
; COMPUTE_PGM_RSRC2:TRAP_HANDLER: 0
; COMPUTE_PGM_RSRC2:TGID_X_EN: 1
; COMPUTE_PGM_RSRC2:TGID_Y_EN: 0
; COMPUTE_PGM_RSRC2:TGID_Z_EN: 0
; COMPUTE_PGM_RSRC2:TIDIG_COMP_CNT: 0
; COMPUTE_PGM_RSRC3_GFX90A:ACCUM_OFFSET: 3
; COMPUTE_PGM_RSRC3_GFX90A:TG_SPLIT: 0
	.section	.text._Z12dense_esuhm3IfEvPKT_S2_PS0_iPKi,"axG",@progbits,_Z12dense_esuhm3IfEvPKT_S2_PS0_iPKi,comdat
	.protected	_Z12dense_esuhm3IfEvPKT_S2_PS0_iPKi ; -- Begin function _Z12dense_esuhm3IfEvPKT_S2_PS0_iPKi
	.globl	_Z12dense_esuhm3IfEvPKT_S2_PS0_iPKi
	.p2align	8
	.type	_Z12dense_esuhm3IfEvPKT_S2_PS0_iPKi,@function
_Z12dense_esuhm3IfEvPKT_S2_PS0_iPKi:    ; @_Z12dense_esuhm3IfEvPKT_S2_PS0_iPKi
; %bb.0:
	s_load_dwordx2 s[4:5], s[0:1], 0x20
	s_ashr_i32 s3, s2, 31
	s_lshl_b64 s[6:7], s[2:3], 2
	s_waitcnt lgkmcnt(0)
	s_add_u32 s4, s4, s6
	s_addc_u32 s5, s5, s7
	s_load_dwordx2 s[10:11], s[4:5], 0x0
	s_waitcnt lgkmcnt(0)
	s_sub_i32 s3, s11, s10
	s_cmp_lt_i32 s3, 1
	s_cbranch_scc1 .LBB2_5
; %bb.1:
	s_load_dword s13, s[0:1], 0x18
	s_load_dword s14, s[0:1], 0x34
	s_load_dwordx4 s[4:7], s[0:1], 0x0
	s_load_dwordx2 s[8:9], s[0:1], 0x10
	s_mov_b32 s12, 0
	s_waitcnt lgkmcnt(0)
	s_abs_i32 s11, s13
	v_cvt_f32_u32_e32 v1, s11
	s_sub_i32 s0, 0, s11
	s_mul_i32 s2, s13, s2
	s_and_b32 s13, s14, 0xffff
	v_rcp_iflag_f32_e32 v1, v1
	s_nop 0
	v_mul_f32_e32 v1, 0x4f7ffffe, v1
	v_cvt_u32_f32_e32 v1, v1
	v_mul_lo_u32 v2, s0, v1
	v_mul_hi_u32 v2, v1, v2
	v_add_u32_e32 v1, v1, v2
	v_add_u32_e32 v2, s10, v0
	s_branch .LBB2_3
.LBB2_2:                                ;   in Loop: Header=BB2_3 Depth=1
	s_or_b64 exec, exec, s[0:1]
	s_add_i32 s12, s12, s13
	s_cmp_ge_i32 s12, s3
	s_cbranch_scc1 .LBB2_5
.LBB2_3:                                ; =>This Inner Loop Header: Depth=1
	v_add_u32_e32 v3, s12, v0
	v_cmp_gt_i32_e32 vcc, s3, v3
	s_and_saveexec_b64 s[0:1], vcc
	s_cbranch_execz .LBB2_2
; %bb.4:                                ;   in Loop: Header=BB2_3 Depth=1
	v_add_u32_e32 v4, s12, v2
	v_ashrrev_i32_e32 v5, 31, v4
	v_lshlrev_b64 v[4:5], 2, v[4:5]
	v_lshl_add_u64 v[6:7], s[4:5], 0, v[4:5]
	global_load_dword v8, v[6:7], off
	v_sub_u32_e32 v7, 0, v3
	v_ashrrev_i32_e32 v6, 31, v3
	v_max_i32_e32 v3, v3, v7
	v_mul_hi_u32 v7, v3, v1
	v_mul_lo_u32 v7, v7, s11
	v_sub_u32_e32 v3, v3, v7
	v_subrev_u32_e32 v7, s11, v3
	v_cmp_le_u32_e32 vcc, s11, v3
	v_lshl_add_u64 v[4:5], s[8:9], 0, v[4:5]
	s_nop 0
	v_cndmask_b32_e32 v3, v3, v7, vcc
	v_subrev_u32_e32 v7, s11, v3
	v_cmp_le_u32_e32 vcc, s11, v3
	s_nop 1
	v_cndmask_b32_e32 v3, v3, v7, vcc
	v_xor_b32_e32 v3, v3, v6
	v_sub_u32_e32 v3, v3, v6
	v_add_u32_e32 v6, s2, v3
	v_ashrrev_i32_e32 v7, 31, v6
	v_lshl_add_u64 v[6:7], v[6:7], 2, s[6:7]
	global_load_dword v3, v[6:7], off
	s_waitcnt vmcnt(0)
	v_add_f32_e32 v3, v8, v3
	global_store_dword v[4:5], v3, off
	s_branch .LBB2_2
.LBB2_5:
	s_endpgm
	.section	.rodata,"a",@progbits
	.p2align	6, 0x0
	.amdhsa_kernel _Z12dense_esuhm3IfEvPKT_S2_PS0_iPKi
		.amdhsa_group_segment_fixed_size 0
		.amdhsa_private_segment_fixed_size 0
		.amdhsa_kernarg_size 296
		.amdhsa_user_sgpr_count 2
		.amdhsa_user_sgpr_dispatch_ptr 0
		.amdhsa_user_sgpr_queue_ptr 0
		.amdhsa_user_sgpr_kernarg_segment_ptr 1
		.amdhsa_user_sgpr_dispatch_id 0
		.amdhsa_user_sgpr_kernarg_preload_length 0
		.amdhsa_user_sgpr_kernarg_preload_offset 0
		.amdhsa_user_sgpr_private_segment_size 0
		.amdhsa_uses_dynamic_stack 0
		.amdhsa_enable_private_segment 0
		.amdhsa_system_sgpr_workgroup_id_x 1
		.amdhsa_system_sgpr_workgroup_id_y 0
		.amdhsa_system_sgpr_workgroup_id_z 0
		.amdhsa_system_sgpr_workgroup_info 0
		.amdhsa_system_vgpr_workitem_id 0
		.amdhsa_next_free_vgpr 9
		.amdhsa_next_free_sgpr 15
		.amdhsa_accum_offset 12
		.amdhsa_reserve_vcc 1
		.amdhsa_float_round_mode_32 0
		.amdhsa_float_round_mode_16_64 0
		.amdhsa_float_denorm_mode_32 3
		.amdhsa_float_denorm_mode_16_64 3
		.amdhsa_dx10_clamp 1
		.amdhsa_ieee_mode 1
		.amdhsa_fp16_overflow 0
		.amdhsa_tg_split 0
		.amdhsa_exception_fp_ieee_invalid_op 0
		.amdhsa_exception_fp_denorm_src 0
		.amdhsa_exception_fp_ieee_div_zero 0
		.amdhsa_exception_fp_ieee_overflow 0
		.amdhsa_exception_fp_ieee_underflow 0
		.amdhsa_exception_fp_ieee_inexact 0
		.amdhsa_exception_int_div_zero 0
	.end_amdhsa_kernel
	.section	.text._Z12dense_esuhm3IfEvPKT_S2_PS0_iPKi,"axG",@progbits,_Z12dense_esuhm3IfEvPKT_S2_PS0_iPKi,comdat
.Lfunc_end2:
	.size	_Z12dense_esuhm3IfEvPKT_S2_PS0_iPKi, .Lfunc_end2-_Z12dense_esuhm3IfEvPKT_S2_PS0_iPKi
                                        ; -- End function
	.set _Z12dense_esuhm3IfEvPKT_S2_PS0_iPKi.num_vgpr, 9
	.set _Z12dense_esuhm3IfEvPKT_S2_PS0_iPKi.num_agpr, 0
	.set _Z12dense_esuhm3IfEvPKT_S2_PS0_iPKi.numbered_sgpr, 15
	.set _Z12dense_esuhm3IfEvPKT_S2_PS0_iPKi.num_named_barrier, 0
	.set _Z12dense_esuhm3IfEvPKT_S2_PS0_iPKi.private_seg_size, 0
	.set _Z12dense_esuhm3IfEvPKT_S2_PS0_iPKi.uses_vcc, 1
	.set _Z12dense_esuhm3IfEvPKT_S2_PS0_iPKi.uses_flat_scratch, 0
	.set _Z12dense_esuhm3IfEvPKT_S2_PS0_iPKi.has_dyn_sized_stack, 0
	.set _Z12dense_esuhm3IfEvPKT_S2_PS0_iPKi.has_recursion, 0
	.set _Z12dense_esuhm3IfEvPKT_S2_PS0_iPKi.has_indirect_call, 0
	.section	.AMDGPU.csdata,"",@progbits
; Kernel info:
; codeLenInByte = 356
; TotalNumSgprs: 21
; NumVgprs: 9
; NumAgprs: 0
; TotalNumVgprs: 9
; ScratchSize: 0
; MemoryBound: 0
; FloatMode: 240
; IeeeMode: 1
; LDSByteSize: 0 bytes/workgroup (compile time only)
; SGPRBlocks: 2
; VGPRBlocks: 1
; NumSGPRsForWavesPerEU: 21
; NumVGPRsForWavesPerEU: 9
; AccumOffset: 12
; Occupancy: 8
; WaveLimiterHint : 1
; COMPUTE_PGM_RSRC2:SCRATCH_EN: 0
; COMPUTE_PGM_RSRC2:USER_SGPR: 2
; COMPUTE_PGM_RSRC2:TRAP_HANDLER: 0
; COMPUTE_PGM_RSRC2:TGID_X_EN: 1
; COMPUTE_PGM_RSRC2:TGID_Y_EN: 0
; COMPUTE_PGM_RSRC2:TGID_Z_EN: 0
; COMPUTE_PGM_RSRC2:TIDIG_COMP_CNT: 0
; COMPUTE_PGM_RSRC3_GFX90A:ACCUM_OFFSET: 2
; COMPUTE_PGM_RSRC3_GFX90A:TG_SPLIT: 0
	.section	.AMDGPU.gpr_maximums,"",@progbits
	.set amdgpu.max_num_vgpr, 0
	.set amdgpu.max_num_agpr, 0
	.set amdgpu.max_num_sgpr, 0
	.section	.AMDGPU.csdata,"",@progbits
	.type	__hip_cuid_544d42e6099d2fa1,@object ; @__hip_cuid_544d42e6099d2fa1
	.section	.bss,"aw",@nobits
	.globl	__hip_cuid_544d42e6099d2fa1
__hip_cuid_544d42e6099d2fa1:
	.byte	0                               ; 0x0
	.size	__hip_cuid_544d42e6099d2fa1, 1

	.ident	"AMD clang version 22.0.0git (https://github.com/RadeonOpenCompute/llvm-project roc-7.2.4 26084 f58b06dce1f9c15707c5f808fd002e18c2accf7e)"
	.section	".note.GNU-stack","",@progbits
	.addrsig
	.addrsig_sym __hip_cuid_544d42e6099d2fa1
	.amdgpu_metadata
---
amdhsa.kernels:
  - .agpr_count:     0
    .args:
      - .actual_access:  read_only
        .address_space:  global
        .offset:         0
        .size:           8
        .value_kind:     global_buffer
      - .actual_access:  read_only
        .address_space:  global
        .offset:         8
        .size:           8
        .value_kind:     global_buffer
      - .address_space:  global
        .offset:         16
        .size:           8
        .value_kind:     global_buffer
      - .offset:         24
        .size:           4
        .value_kind:     by_value
      - .actual_access:  read_only
        .address_space:  global
        .offset:         32
        .size:           8
        .value_kind:     global_buffer
      - .offset:         40
        .size:           4
        .value_kind:     hidden_block_count_x
      - .offset:         44
        .size:           4
        .value_kind:     hidden_block_count_y
      - .offset:         48
        .size:           4
        .value_kind:     hidden_block_count_z
      - .offset:         52
        .size:           2
        .value_kind:     hidden_group_size_x
      - .offset:         54
        .size:           2
        .value_kind:     hidden_group_size_y
      - .offset:         56
        .size:           2
        .value_kind:     hidden_group_size_z
      - .offset:         58
        .size:           2
        .value_kind:     hidden_remainder_x
      - .offset:         60
        .size:           2
        .value_kind:     hidden_remainder_y
      - .offset:         62
        .size:           2
        .value_kind:     hidden_remainder_z
      - .offset:         80
        .size:           8
        .value_kind:     hidden_global_offset_x
      - .offset:         88
        .size:           8
        .value_kind:     hidden_global_offset_y
      - .offset:         96
        .size:           8
        .value_kind:     hidden_global_offset_z
      - .offset:         104
        .size:           2
        .value_kind:     hidden_grid_dims
    .group_segment_fixed_size: 0
    .kernarg_segment_align: 8
    .kernarg_segment_size: 296
    .language:       OpenCL C
    .language_version:
      - 2
      - 0
    .max_flat_workgroup_size: 1024
    .name:           _Z11dense_esuhmIfEvPKT_S2_PS0_iPKi
    .private_segment_fixed_size: 0
    .sgpr_count:     34
    .sgpr_spill_count: 0
    .symbol:         _Z11dense_esuhmIfEvPKT_S2_PS0_iPKi.kd
    .uniform_work_group_size: 1
    .uses_dynamic_stack: false
    .vgpr_count:     16
    .vgpr_spill_count: 0
    .wavefront_size: 64
  - .agpr_count:     0
    .args:
      - .actual_access:  read_only
        .address_space:  global
        .offset:         0
        .size:           8
        .value_kind:     global_buffer
      - .actual_access:  read_only
        .address_space:  global
        .offset:         8
        .size:           8
        .value_kind:     global_buffer
      - .address_space:  global
        .offset:         16
        .size:           8
        .value_kind:     global_buffer
      - .offset:         24
        .size:           4
        .value_kind:     by_value
      - .actual_access:  read_only
        .address_space:  global
        .offset:         32
        .size:           8
        .value_kind:     global_buffer
      - .offset:         40
        .size:           4
        .value_kind:     hidden_block_count_x
      - .offset:         44
        .size:           4
        .value_kind:     hidden_block_count_y
      - .offset:         48
        .size:           4
        .value_kind:     hidden_block_count_z
      - .offset:         52
        .size:           2
        .value_kind:     hidden_group_size_x
      - .offset:         54
        .size:           2
        .value_kind:     hidden_group_size_y
      - .offset:         56
        .size:           2
        .value_kind:     hidden_group_size_z
      - .offset:         58
        .size:           2
        .value_kind:     hidden_remainder_x
      - .offset:         60
        .size:           2
        .value_kind:     hidden_remainder_y
      - .offset:         62
        .size:           2
        .value_kind:     hidden_remainder_z
      - .offset:         80
        .size:           8
        .value_kind:     hidden_global_offset_x
      - .offset:         88
        .size:           8
        .value_kind:     hidden_global_offset_y
      - .offset:         96
        .size:           8
        .value_kind:     hidden_global_offset_z
      - .offset:         104
        .size:           2
        .value_kind:     hidden_grid_dims
    .group_segment_fixed_size: 0
    .kernarg_segment_align: 8
    .kernarg_segment_size: 296
    .language:       OpenCL C
    .language_version:
      - 2
      - 0
    .max_flat_workgroup_size: 1024
    .name:           _Z12dense_esuhm2IfEvPKT_S2_PS0_iPKi
    .private_segment_fixed_size: 0
    .sgpr_count:     34
    .sgpr_spill_count: 0
    .symbol:         _Z12dense_esuhm2IfEvPKT_S2_PS0_iPKi.kd
    .uniform_work_group_size: 1
    .uses_dynamic_stack: false
    .vgpr_count:     16
    .vgpr_spill_count: 0
    .wavefront_size: 64
  - .agpr_count:     0
    .args:
      - .actual_access:  read_only
        .address_space:  global
        .offset:         0
        .size:           8
        .value_kind:     global_buffer
      - .actual_access:  read_only
        .address_space:  global
        .offset:         8
        .size:           8
        .value_kind:     global_buffer
      - .address_space:  global
        .offset:         16
        .size:           8
        .value_kind:     global_buffer
      - .offset:         24
        .size:           4
        .value_kind:     by_value
      - .actual_access:  read_only
        .address_space:  global
        .offset:         32
        .size:           8
        .value_kind:     global_buffer
      - .offset:         40
        .size:           4
        .value_kind:     hidden_block_count_x
      - .offset:         44
        .size:           4
        .value_kind:     hidden_block_count_y
      - .offset:         48
        .size:           4
        .value_kind:     hidden_block_count_z
      - .offset:         52
        .size:           2
        .value_kind:     hidden_group_size_x
      - .offset:         54
        .size:           2
        .value_kind:     hidden_group_size_y
      - .offset:         56
        .size:           2
        .value_kind:     hidden_group_size_z
      - .offset:         58
        .size:           2
        .value_kind:     hidden_remainder_x
      - .offset:         60
        .size:           2
        .value_kind:     hidden_remainder_y
      - .offset:         62
        .size:           2
        .value_kind:     hidden_remainder_z
      - .offset:         80
        .size:           8
        .value_kind:     hidden_global_offset_x
      - .offset:         88
        .size:           8
        .value_kind:     hidden_global_offset_y
      - .offset:         96
        .size:           8
        .value_kind:     hidden_global_offset_z
      - .offset:         104
        .size:           2
        .value_kind:     hidden_grid_dims
    .group_segment_fixed_size: 0
    .kernarg_segment_align: 8
    .kernarg_segment_size: 296
    .language:       OpenCL C
    .language_version:
      - 2
      - 0
    .max_flat_workgroup_size: 1024
    .name:           _Z12dense_esuhm3IfEvPKT_S2_PS0_iPKi
    .private_segment_fixed_size: 0
    .sgpr_count:     21
    .sgpr_spill_count: 0
    .symbol:         _Z12dense_esuhm3IfEvPKT_S2_PS0_iPKi.kd
    .uniform_work_group_size: 1
    .uses_dynamic_stack: false
    .vgpr_count:     9
    .vgpr_spill_count: 0
    .wavefront_size: 64
amdhsa.target:   amdgcn-amd-amdhsa--gfx950
amdhsa.version:
  - 1
  - 2
...

	.end_amdgpu_metadata
